;; amdgpu-corpus repo=ROCm/rocFFT kind=compiled arch=gfx950 opt=O3
	.text
	.amdgcn_target "amdgcn-amd-amdhsa--gfx950"
	.amdhsa_code_object_version 6
	.protected	bluestein_single_fwd_len112_dim1_dp_op_CI_CI ; -- Begin function bluestein_single_fwd_len112_dim1_dp_op_CI_CI
	.globl	bluestein_single_fwd_len112_dim1_dp_op_CI_CI
	.p2align	8
	.type	bluestein_single_fwd_len112_dim1_dp_op_CI_CI,@function
bluestein_single_fwd_len112_dim1_dp_op_CI_CI: ; @bluestein_single_fwd_len112_dim1_dp_op_CI_CI
; %bb.0:
	s_load_dwordx4 s[8:11], s[0:1], 0x28
	v_lshrrev_b32_e32 v1, 4, v0
	v_lshl_or_b32 v88, s2, 4, v1
	v_mov_b32_e32 v89, 0
	s_waitcnt lgkmcnt(0)
	v_cmp_gt_u64_e32 vcc, s[8:9], v[88:89]
	s_and_saveexec_b64 s[2:3], vcc
	s_cbranch_execz .LBB0_15
; %bb.1:
	s_load_dwordx2 s[8:9], s[0:1], 0x0
	s_load_dwordx2 s[12:13], s[0:1], 0x38
	v_and_b32_e32 v91, 15, v0
	v_mul_u32_u24_e32 v92, 0x70, v1
	v_cmp_gt_u32_e32 vcc, 7, v91
	v_lshlrev_b32_e32 v89, 4, v91
	v_or_b32_e32 v70, v92, v91
	v_add_lshl_u32 v71, v92, v91, 4
	v_or_b32_e32 v90, 56, v91
	s_and_saveexec_b64 s[2:3], vcc
	s_cbranch_execz .LBB0_3
; %bb.2:
	s_load_dwordx2 s[4:5], s[0:1], 0x18
	v_mov_b32_e32 v0, s10
	v_mov_b32_e32 v1, s11
	;; [unrolled: 1-line block ×4, first 2 shown]
	s_waitcnt lgkmcnt(0)
	s_load_dwordx4 s[4:7], s[4:5], 0x0
	s_waitcnt lgkmcnt(0)
	v_mad_u64_u32 v[2:3], s[10:11], s6, v88, 0
	v_mad_u64_u32 v[4:5], s[10:11], s4, v91, 0
	v_mov_b32_e32 v6, v3
	v_mov_b32_e32 v8, v5
	v_mad_u64_u32 v[6:7], s[6:7], s7, v88, v[6:7]
	v_mov_b32_e32 v3, v6
	v_mad_u64_u32 v[6:7], s[6:7], s5, v91, v[8:9]
	v_mov_b32_e32 v5, v6
	v_lshl_add_u64 v[68:69], v[2:3], 4, v[0:1]
	v_lshl_add_u64 v[12:13], v[4:5], 4, v[68:69]
	s_mul_i32 s6, s5, 0x70
	v_mad_u64_u32 v[28:29], s[10:11], s4, v93, v[12:13]
	v_add_u32_e32 v29, s6, v29
	v_mad_u64_u32 v[30:31], s[10:11], s4, v93, v[28:29]
	global_load_dwordx4 v[0:3], v[12:13], off
	v_add_u32_e32 v31, s6, v31
	global_load_dwordx4 v[4:7], v89, s[8:9]
	global_load_dwordx4 v[8:11], v89, s[8:9] offset:112
	v_mad_u64_u32 v[36:37], s[10:11], s4, v93, v[30:31]
	global_load_dwordx4 v[12:15], v89, s[8:9] offset:224
	global_load_dwordx4 v[16:19], v89, s[8:9] offset:336
	global_load_dwordx4 v[24:27], v[28:29], off
	global_load_dwordx4 v[20:23], v[30:31], off
	v_add_u32_e32 v37, s6, v37
	v_mad_u64_u32 v[38:39], s[10:11], s4, v93, v[36:37]
	v_add_u32_e32 v39, s6, v39
	v_mad_u64_u32 v[48:49], s[10:11], s4, v93, v[38:39]
	global_load_dwordx4 v[28:31], v89, s[8:9] offset:448
	global_load_dwordx4 v[32:35], v89, s[8:9] offset:560
	global_load_dwordx4 v[44:47], v[36:37], off
	global_load_dwordx4 v[40:43], v[38:39], off
	v_add_u32_e32 v49, s6, v49
	v_mad_u64_u32 v[72:73], s[10:11], s4, v93, v[48:49]
	v_add_u32_e32 v73, s6, v73
	v_mad_u64_u32 v[76:77], s[10:11], s4, v90, 0
	global_load_dwordx4 v[36:39], v[48:49], off
	v_mov_b32_e32 v78, v77
	v_mad_u64_u32 v[80:81], s[10:11], s4, v93, v[72:73]
	v_add_u32_e32 v81, s6, v81
	v_mad_u64_u32 v[78:79], s[10:11], s5, v90, v[78:79]
	global_load_dwordx4 v[48:51], v[72:73], off
	global_load_dwordx4 v[52:55], v89, s[8:9] offset:672
	global_load_dwordx4 v[56:59], v89, s[8:9] offset:784
	global_load_dwordx4 v[60:63], v89, s[8:9] offset:896
	global_load_dwordx4 v[64:67], v89, s[8:9] offset:1008
	v_mov_b32_e32 v77, v78
	global_load_dwordx4 v[72:75], v[80:81], off
	v_lshl_add_u64 v[68:69], v[76:77], 4, v[68:69]
	global_load_dwordx4 v[76:79], v[68:69], off
	s_mulk_i32 s5, 0xe0
	v_mad_u64_u32 v[68:69], s[10:11], s4, v82, v[80:81]
	v_add_u32_e32 v69, s5, v69
	global_load_dwordx4 v[80:83], v[68:69], off
	v_mad_u64_u32 v[68:69], s[10:11], s4, v93, v[68:69]
	v_add_u32_e32 v69, s6, v69
	global_load_dwordx4 v[84:87], v[68:69], off
	global_load_dwordx4 v[94:97], v89, s[8:9] offset:1120
	v_mad_u64_u32 v[68:69], s[10:11], s4, v93, v[68:69]
	v_add_u32_e32 v69, s6, v69
	global_load_dwordx4 v[98:101], v[68:69], off
	global_load_dwordx4 v[102:105], v89, s[8:9] offset:1232
	;; [unrolled: 4-line block ×6, first 2 shown]
	v_lshlrev_b32_e32 v68, 4, v70
	v_lshl_add_u32 v69, v92, 4, v89
	s_waitcnt vmcnt(30)
	v_mul_f64 v[138:139], v[2:3], v[6:7]
	v_mul_f64 v[6:7], v[0:1], v[6:7]
	v_fmac_f64_e32 v[138:139], v[0:1], v[4:5]
	v_fma_f64 v[140:141], v[2:3], v[4:5], -v[6:7]
	s_waitcnt vmcnt(26)
	v_mul_f64 v[0:1], v[26:27], v[10:11]
	v_mul_f64 v[2:3], v[24:25], v[10:11]
	v_fmac_f64_e32 v[0:1], v[24:25], v[8:9]
	v_fma_f64 v[2:3], v[26:27], v[8:9], -v[2:3]
	ds_write_b128 v68, v[138:141]
	ds_write_b128 v71, v[0:3] offset:112
	s_waitcnt vmcnt(25)
	v_mul_f64 v[0:1], v[22:23], v[14:15]
	v_mul_f64 v[2:3], v[20:21], v[14:15]
	v_fmac_f64_e32 v[0:1], v[20:21], v[12:13]
	v_fma_f64 v[2:3], v[22:23], v[12:13], -v[2:3]
	ds_write_b128 v69, v[0:3] offset:224
	s_waitcnt vmcnt(22)
	v_mul_f64 v[0:1], v[46:47], v[18:19]
	v_mul_f64 v[2:3], v[44:45], v[18:19]
	v_fmac_f64_e32 v[0:1], v[44:45], v[16:17]
	v_fma_f64 v[2:3], v[46:47], v[16:17], -v[2:3]
	;; [unrolled: 6-line block ×4, first 2 shown]
	s_waitcnt vmcnt(18)
	v_mul_f64 v[4:5], v[50:51], v[54:55]
	v_mul_f64 v[6:7], v[48:49], v[54:55]
	v_fmac_f64_e32 v[4:5], v[48:49], v[52:53]
	v_fma_f64 v[6:7], v[50:51], v[52:53], -v[6:7]
	ds_write_b128 v69, v[0:3] offset:560
	ds_write_b128 v69, v[4:7] offset:672
	s_waitcnt vmcnt(14)
	v_mul_f64 v[0:1], v[74:75], v[58:59]
	v_mul_f64 v[2:3], v[72:73], v[58:59]
	v_fmac_f64_e32 v[0:1], v[72:73], v[56:57]
	v_fma_f64 v[2:3], v[74:75], v[56:57], -v[2:3]
	ds_write_b128 v69, v[0:3] offset:784
	s_waitcnt vmcnt(13)
	v_mul_f64 v[0:1], v[78:79], v[62:63]
	v_mul_f64 v[2:3], v[76:77], v[62:63]
	v_fmac_f64_e32 v[0:1], v[76:77], v[60:61]
	v_fma_f64 v[2:3], v[78:79], v[60:61], -v[2:3]
	;; [unrolled: 6-line block ×9, first 2 shown]
	ds_write_b128 v69, v[0:3] offset:1680
.LBB0_3:
	s_or_b64 exec, exec, s[2:3]
	s_load_dwordx2 s[2:3], s[0:1], 0x20
	s_load_dwordx2 s[4:5], s[0:1], 0x8
	v_lshlrev_b32_e32 v93, 4, v92
	s_waitcnt lgkmcnt(0)
	s_barrier
	s_waitcnt lgkmcnt(0)
                                        ; implicit-def: $vgpr50_vgpr51
                                        ; implicit-def: $vgpr30_vgpr31
                                        ; implicit-def: $vgpr18_vgpr19
                                        ; implicit-def: $vgpr2_vgpr3
                                        ; implicit-def: $vgpr56_vgpr57
                                        ; implicit-def: $vgpr44_vgpr45
                                        ; implicit-def: $vgpr52_vgpr53
                                        ; implicit-def: $vgpr36_vgpr37
                                        ; implicit-def: $vgpr40_vgpr41
                                        ; implicit-def: $vgpr32_vgpr33
                                        ; implicit-def: $vgpr24_vgpr25
                                        ; implicit-def: $vgpr12_vgpr13
                                        ; implicit-def: $vgpr20_vgpr21
                                        ; implicit-def: $vgpr4_vgpr5
                                        ; implicit-def: $vgpr8_vgpr9
                                        ; implicit-def: $vgpr60_vgpr61
	s_and_saveexec_b64 s[0:1], vcc
	s_cbranch_execz .LBB0_5
; %bb.4:
	v_lshlrev_b32_e32 v0, 4, v70
	v_lshl_add_u32 v48, v91, 4, v93
	ds_read_b128 v[0:3], v0
	ds_read_b128 v[8:11], v48 offset:224
	ds_read_b128 v[4:7], v48 offset:336
	;; [unrolled: 1-line block ×15, first 2 shown]
.LBB0_5:
	s_or_b64 exec, exec, s[0:1]
	s_waitcnt lgkmcnt(8)
	v_add_f64 v[32:33], v[0:1], -v[32:33]
	v_add_f64 v[34:35], v[2:3], -v[34:35]
	s_waitcnt lgkmcnt(4)
	v_add_f64 v[52:53], v[20:21], -v[52:53]
	v_add_f64 v[54:55], v[22:23], -v[54:55]
	;; [unrolled: 1-line block ×3, first 2 shown]
	s_waitcnt lgkmcnt(2)
	v_add_f64 v[58:59], v[18:19], -v[58:59]
	s_waitcnt lgkmcnt(1)
	v_add_f64 v[28:29], v[60:61], -v[28:29]
	v_add_f64 v[44:45], v[12:13], -v[44:45]
	v_fma_f64 v[0:1], v[0:1], 2.0, -v[32:33]
	v_fma_f64 v[2:3], v[2:3], 2.0, -v[34:35]
	;; [unrolled: 1-line block ×4, first 2 shown]
	v_add_f64 v[40:41], v[8:9], -v[40:41]
	v_fma_f64 v[10:11], v[10:11], 2.0, -v[42:43]
	v_add_f64 v[56:57], v[16:17], -v[56:57]
	v_fma_f64 v[18:19], v[18:19], 2.0, -v[58:59]
	;; [unrolled: 2-line block ×4, first 2 shown]
	v_fma_f64 v[8:9], v[8:9], 2.0, -v[40:41]
	v_fma_f64 v[16:17], v[16:17], 2.0, -v[56:57]
	;; [unrolled: 1-line block ×4, first 2 shown]
	v_add_f64 v[36:37], v[4:5], -v[36:37]
	v_add_f64 v[38:39], v[6:7], -v[38:39]
	s_waitcnt lgkmcnt(0)
	v_add_f64 v[48:49], v[24:25], -v[48:49]
	v_add_f64 v[50:51], v[26:27], -v[50:51]
	;; [unrolled: 1-line block ×6, first 2 shown]
	s_mov_b32 s0, 0x667f3bcd
	v_fma_f64 v[4:5], v[4:5], 2.0, -v[36:37]
	v_fma_f64 v[6:7], v[6:7], 2.0, -v[38:39]
	v_fma_f64 v[24:25], v[24:25], 2.0, -v[48:49]
	v_fma_f64 v[26:27], v[26:27], 2.0, -v[50:51]
	v_fma_f64 v[2:3], v[2:3], 2.0, -v[22:23]
	v_add_f64 v[54:55], v[32:33], -v[54:55]
	v_add_f64 v[52:53], v[34:35], v[52:53]
	v_add_f64 v[66:67], v[8:9], -v[16:17]
	v_fma_f64 v[10:11], v[10:11], 2.0, -v[18:19]
	v_add_f64 v[58:59], v[40:41], -v[58:59]
	v_add_f64 v[56:57], v[56:57], v[42:43]
	v_add_f64 v[72:73], v[62:63], -v[14:15]
	v_fma_f64 v[74:75], v[60:61], 2.0, -v[68:69]
	s_mov_b32 s1, 0xbfe6a09e
	s_mov_b32 s7, 0x3fe6a09e
	;; [unrolled: 1-line block ×3, first 2 shown]
	v_add_f64 v[60:61], v[64:65], -v[18:19]
	v_fma_f64 v[0:1], v[0:1], 2.0, -v[64:65]
	v_fma_f64 v[32:33], v[32:33], 2.0, -v[54:55]
	;; [unrolled: 1-line block ×7, first 2 shown]
	v_add_f64 v[24:25], v[4:5], -v[24:25]
	v_add_f64 v[26:27], v[6:7], -v[26:27]
	;; [unrolled: 1-line block ×3, first 2 shown]
	v_add_f64 v[62:63], v[22:23], v[66:67]
	v_fma_f64 v[10:11], v[64:65], 2.0, -v[60:61]
	v_fma_f64 v[64:65], s[6:7], v[58:59], v[54:55]
	v_fma_f64 v[66:67], s[6:7], v[56:57], v[52:53]
	v_add_f64 v[46:47], v[28:29], -v[46:47]
	v_add_f64 v[44:45], v[44:45], v[30:31]
	v_fma_f64 v[78:79], v[4:5], 2.0, -v[24:25]
	v_fma_f64 v[80:81], v[6:7], 2.0, -v[26:27]
	v_add_f64 v[50:51], v[36:37], -v[50:51]
	v_add_f64 v[48:49], v[48:49], v[38:39]
	v_fma_f64 v[16:17], s[0:1], v[40:41], v[32:33]
	v_fma_f64 v[20:21], s[0:1], v[42:43], v[34:35]
	v_fmac_f64_e32 v[64:65], s[0:1], v[56:57]
	v_fmac_f64_e32 v[66:67], s[6:7], v[58:59]
	v_fma_f64 v[28:29], v[28:29], 2.0, -v[46:47]
	v_fma_f64 v[30:31], v[30:31], 2.0, -v[44:45]
	;; [unrolled: 1-line block ×4, first 2 shown]
	v_fmac_f64_e32 v[16:17], s[0:1], v[42:43]
	v_fmac_f64_e32 v[20:21], s[6:7], v[40:41]
	v_fma_f64 v[14:15], v[22:23], 2.0, -v[62:63]
	v_fma_f64 v[18:19], v[54:55], 2.0, -v[64:65]
	;; [unrolled: 1-line block ×3, first 2 shown]
	v_add_f64 v[52:53], v[74:75], -v[78:79]
	v_add_f64 v[54:55], v[76:77], -v[80:81]
	v_fma_f64 v[4:5], v[32:33], 2.0, -v[16:17]
	v_fma_f64 v[6:7], v[34:35], 2.0, -v[20:21]
	;; [unrolled: 1-line block ×4, first 2 shown]
	v_fma_f64 v[56:57], s[0:1], v[36:37], v[28:29]
	v_fma_f64 v[58:59], s[0:1], v[38:39], v[30:31]
	v_add_f64 v[74:75], v[68:69], -v[26:27]
	v_add_f64 v[76:77], v[24:25], v[72:73]
	v_fmac_f64_e32 v[56:57], s[0:1], v[38:39]
	v_fmac_f64_e32 v[58:59], s[6:7], v[36:37]
	v_fma_f64 v[36:37], v[68:69], 2.0, -v[74:75]
	v_fma_f64 v[38:39], v[72:73], 2.0, -v[76:77]
	v_fma_f64 v[68:69], s[6:7], v[50:51], v[46:47]
	v_fma_f64 v[72:73], s[6:7], v[48:49], v[44:45]
	v_fmac_f64_e32 v[68:69], s[0:1], v[48:49]
	v_fmac_f64_e32 v[72:73], s[6:7], v[50:51]
	s_mov_b32 s14, 0xa6aea964
	v_fma_f64 v[48:49], v[46:47], 2.0, -v[68:69]
	v_fma_f64 v[50:51], v[44:45], 2.0, -v[72:73]
	s_mov_b32 s10, 0xcf328d46
	s_mov_b32 s15, 0xbfd87de2
	;; [unrolled: 1-line block ×5, first 2 shown]
	v_fma_f64 v[44:45], s[14:15], v[48:49], v[18:19]
	v_fma_f64 v[46:47], s[14:15], v[50:51], v[22:23]
	s_mov_b32 s19, 0x3fed906b
	s_mov_b32 s18, s10
	v_add_f64 v[8:9], v[0:1], -v[8:9]
	v_fmac_f64_e32 v[44:45], s[10:11], v[50:51]
	v_fmac_f64_e32 v[46:47], s[18:19], v[48:49]
	v_fma_f64 v[48:49], s[16:17], v[56:57], v[16:17]
	v_fma_f64 v[50:51], s[16:17], v[58:59], v[20:21]
	v_fma_f64 v[0:1], v[0:1], 2.0, -v[8:9]
	v_fma_f64 v[2:3], v[2:3], 2.0, -v[12:13]
	;; [unrolled: 1-line block ×4, first 2 shown]
	v_fma_f64 v[40:41], s[0:1], v[36:37], v[10:11]
	v_fma_f64 v[42:43], s[0:1], v[38:39], v[14:15]
	v_fmac_f64_e32 v[48:49], s[10:11], v[58:59]
	v_fmac_f64_e32 v[50:51], s[18:19], v[56:57]
	v_fma_f64 v[56:57], s[18:19], v[68:69], v[64:65]
	v_fma_f64 v[58:59], s[18:19], v[72:73], v[66:67]
	v_add_f64 v[24:25], v[0:1], -v[32:33]
	v_add_f64 v[26:27], v[2:3], -v[34:35]
	v_fma_f64 v[32:33], s[10:11], v[28:29], v[4:5]
	v_fma_f64 v[34:35], s[10:11], v[30:31], v[6:7]
	v_fmac_f64_e32 v[40:41], s[0:1], v[38:39]
	v_fmac_f64_e32 v[42:43], s[6:7], v[36:37]
	v_add_f64 v[36:37], v[8:9], -v[54:55]
	v_add_f64 v[38:39], v[12:13], v[52:53]
	v_fma_f64 v[52:53], s[6:7], v[74:75], v[60:61]
	v_fma_f64 v[54:55], s[6:7], v[76:77], v[62:63]
	v_fmac_f64_e32 v[56:57], s[14:15], v[72:73]
	v_fmac_f64_e32 v[58:59], s[16:17], v[68:69]
	;; [unrolled: 1-line block ×6, first 2 shown]
	v_fma_f64 v[28:29], v[64:65], 2.0, -v[56:57]
	v_fma_f64 v[30:31], v[66:67], 2.0, -v[58:59]
	s_barrier
	s_and_saveexec_b64 s[0:1], vcc
	s_cbranch_execz .LBB0_7
; %bb.6:
	v_fma_f64 v[72:73], v[8:9], 2.0, -v[36:37]
	v_fma_f64 v[2:3], v[2:3], 2.0, -v[26:27]
	;; [unrolled: 1-line block ×3, first 2 shown]
	v_add_lshl_u32 v8, v92, v89, 4
	v_fma_f64 v[62:63], v[62:63], 2.0, -v[54:55]
	v_fma_f64 v[60:61], v[60:61], 2.0, -v[52:53]
	;; [unrolled: 1-line block ×11, first 2 shown]
	ds_write_b128 v8, v[0:3]
	ds_write_b128 v8, v[4:7] offset:16
	ds_write_b128 v8, v[10:13] offset:32
	;; [unrolled: 1-line block ×15, first 2 shown]
.LBB0_7:
	s_or_b64 exec, exec, s[0:1]
	v_mul_u32_u24_e32 v0, 6, v91
	v_lshlrev_b32_e32 v60, 4, v0
	s_load_dwordx4 s[0:3], s[2:3], 0x0
	s_waitcnt lgkmcnt(0)
	s_barrier
	global_load_dwordx4 v[12:15], v60, s[4:5]
	global_load_dwordx4 v[8:11], v60, s[4:5] offset:16
	global_load_dwordx4 v[4:7], v60, s[4:5] offset:32
	;; [unrolled: 1-line block ×5, first 2 shown]
	v_lshlrev_b32_e32 v94, 4, v70
	ds_read_b128 v[60:63], v94
	ds_read_b128 v[64:67], v94 offset:256
	ds_read_b128 v[68:71], v94 offset:512
	;; [unrolled: 1-line block ×6, first 2 shown]
	s_mov_b32 s10, 0xe976ee23
	s_mov_b32 s11, 0xbfe11646
	;; [unrolled: 1-line block ×6, first 2 shown]
	v_lshl_add_u32 v93, v91, 4, v93
	s_waitcnt vmcnt(5) lgkmcnt(5)
	v_mul_f64 v[96:97], v[66:67], v[14:15]
	v_mul_f64 v[98:99], v[64:65], v[14:15]
	s_waitcnt vmcnt(4) lgkmcnt(4)
	v_mul_f64 v[100:101], v[70:71], v[10:11]
	v_mul_f64 v[102:103], v[68:69], v[10:11]
	s_waitcnt vmcnt(3) lgkmcnt(3)
	v_mul_f64 v[104:105], v[74:75], v[6:7]
	v_mul_f64 v[106:107], v[72:73], v[6:7]
	s_waitcnt vmcnt(2) lgkmcnt(2)
	v_mul_f64 v[108:109], v[78:79], v[2:3]
	v_mul_f64 v[110:111], v[76:77], v[2:3]
	s_waitcnt vmcnt(1) lgkmcnt(1)
	v_mul_f64 v[112:113], v[82:83], v[22:23]
	v_mul_f64 v[114:115], v[80:81], v[22:23]
	s_waitcnt vmcnt(0) lgkmcnt(0)
	v_mul_f64 v[116:117], v[86:87], v[18:19]
	v_mul_f64 v[118:119], v[84:85], v[18:19]
	v_fma_f64 v[64:65], v[64:65], v[12:13], -v[96:97]
	v_fmac_f64_e32 v[98:99], v[66:67], v[12:13]
	v_fma_f64 v[66:67], v[68:69], v[8:9], -v[100:101]
	v_fmac_f64_e32 v[102:103], v[70:71], v[8:9]
	;; [unrolled: 2-line block ×6, first 2 shown]
	v_add_f64 v[76:77], v[64:65], v[74:75]
	v_add_f64 v[78:79], v[98:99], v[118:119]
	;; [unrolled: 1-line block ×4, first 2 shown]
	v_add_f64 v[66:67], v[66:67], -v[72:73]
	v_add_f64 v[72:73], v[102:103], -v[114:115]
	v_add_f64 v[84:85], v[68:69], v[70:71]
	v_add_f64 v[68:69], v[70:71], -v[68:69]
	v_add_f64 v[70:71], v[110:111], -v[106:107]
	;; [unrolled: 1-line block ×4, first 2 shown]
	v_add_f64 v[86:87], v[106:107], v[110:111]
	v_add_f64 v[96:97], v[80:81], v[76:77]
	;; [unrolled: 1-line block ×5, first 2 shown]
	v_add_f64 v[108:109], v[68:69], -v[66:67]
	v_add_f64 v[110:111], v[70:71], -v[72:73]
	;; [unrolled: 1-line block ×12, first 2 shown]
	v_add_f64 v[84:85], v[84:85], v[96:97]
	v_add_f64 v[86:87], v[86:87], v[98:99]
	;; [unrolled: 1-line block ×4, first 2 shown]
	v_mul_f64 v[104:105], v[108:109], s[10:11]
	v_mul_f64 v[106:107], v[110:111], s[10:11]
	s_mov_b32 s10, 0xaaaaaaaa
	v_add_f64 v[60:61], v[60:61], v[84:85]
	v_add_f64 v[62:63], v[62:63], v[86:87]
	s_mov_b32 s11, 0xbff2aaaa
	v_mul_f64 v[96:97], v[80:81], s[4:5]
	v_mul_f64 v[98:99], v[82:83], s[4:5]
	v_fma_f64 v[84:85], s[10:11], v[84:85], v[60:61]
	v_fma_f64 v[86:87], s[10:11], v[86:87], v[62:63]
	s_mov_b32 s11, 0x3fe77f67
	s_mov_b32 s10, 0x5476071b
	v_mul_f64 v[76:77], v[76:77], s[6:7]
	v_mul_f64 v[78:79], v[78:79], s[6:7]
	s_mov_b32 s6, 0x429ad128
	v_fma_f64 v[96:97], v[100:101], s[10:11], -v[96:97]
	v_fma_f64 v[98:99], v[102:103], s[10:11], -v[98:99]
	s_mov_b32 s11, 0xbfe77f67
	s_mov_b32 s7, 0x3febfeb5
	v_fma_f64 v[80:81], s[4:5], v[80:81], v[76:77]
	v_fma_f64 v[76:77], v[100:101], s[10:11], -v[76:77]
	v_fma_f64 v[100:101], v[102:103], s[10:11], -v[78:79]
	v_fmac_f64_e32 v[78:79], s[4:5], v[82:83]
	s_mov_b32 s5, 0x3fd5d0dc
	s_mov_b32 s4, 0xb247c609
	v_mul_f64 v[108:109], v[66:67], s[6:7]
	v_mul_f64 v[110:111], v[72:73], s[6:7]
	v_fma_f64 v[102:103], s[4:5], v[68:69], v[104:105]
	v_fma_f64 v[72:73], v[72:73], s[6:7], -v[106:107]
	v_fmac_f64_e32 v[106:107], s[4:5], v[70:71]
	s_mov_b32 s5, 0xbfd5d0dc
	v_fma_f64 v[82:83], v[66:67], s[6:7], -v[104:105]
	v_fma_f64 v[104:105], v[68:69], s[4:5], -v[108:109]
	;; [unrolled: 1-line block ×3, first 2 shown]
	s_mov_b32 s4, 0x37c3f68c
	s_mov_b32 s5, 0x3fdc38aa
	v_add_f64 v[110:111], v[80:81], v[84:85]
	v_add_f64 v[112:113], v[78:79], v[86:87]
	;; [unrolled: 1-line block ×6, first 2 shown]
	v_fmac_f64_e32 v[102:103], s[4:5], v[64:65]
	v_fmac_f64_e32 v[106:107], s[4:5], v[74:75]
	;; [unrolled: 1-line block ×6, first 2 shown]
	v_add_f64 v[64:65], v[106:107], v[110:111]
	v_add_f64 v[66:67], v[112:113], -v[102:103]
	v_add_f64 v[68:69], v[108:109], v[84:85]
	v_add_f64 v[70:71], v[86:87], -v[104:105]
	v_add_f64 v[76:77], v[80:81], -v[72:73]
	v_add_f64 v[78:79], v[82:83], v[96:97]
	v_add_f64 v[72:73], v[72:73], v[80:81]
	v_add_f64 v[74:75], v[96:97], -v[82:83]
	v_add_f64 v[80:81], v[84:85], -v[108:109]
	v_add_f64 v[82:83], v[104:105], v[86:87]
	v_add_f64 v[84:85], v[110:111], -v[106:107]
	v_add_f64 v[86:87], v[102:103], v[112:113]
	ds_write_b128 v94, v[60:63]
	ds_write_b128 v93, v[64:67] offset:256
	ds_write_b128 v93, v[68:71] offset:512
	;; [unrolled: 1-line block ×6, first 2 shown]
	s_waitcnt lgkmcnt(0)
	s_barrier
	s_and_saveexec_b64 s[4:5], vcc
	s_cbranch_execz .LBB0_9
; %bb.8:
	global_load_dwordx4 v[100:103], v89, s[8:9] offset:1792
	ds_read_b128 v[96:99], v94
	s_add_u32 s6, s8, 0x700
	s_addc_u32 s7, s9, 0
	s_waitcnt vmcnt(0) lgkmcnt(0)
	v_mul_f64 v[104:105], v[98:99], v[102:103]
	v_mul_f64 v[106:107], v[96:97], v[102:103]
	v_fma_f64 v[104:105], v[96:97], v[100:101], -v[104:105]
	v_fmac_f64_e32 v[106:107], v[98:99], v[100:101]
	global_load_dwordx4 v[100:103], v89, s[6:7] offset:112
	ds_write_b128 v94, v[104:107]
	ds_read_b128 v[96:99], v93 offset:112
	s_waitcnt vmcnt(0) lgkmcnt(0)
	v_mul_f64 v[104:105], v[98:99], v[102:103]
	v_mul_f64 v[106:107], v[96:97], v[102:103]
	v_fma_f64 v[104:105], v[96:97], v[100:101], -v[104:105]
	v_fmac_f64_e32 v[106:107], v[98:99], v[100:101]
	global_load_dwordx4 v[100:103], v89, s[6:7] offset:224
	ds_read_b128 v[96:99], v93 offset:224
	ds_write_b128 v93, v[104:107] offset:112
	s_waitcnt vmcnt(0) lgkmcnt(1)
	v_mul_f64 v[104:105], v[98:99], v[102:103]
	v_mul_f64 v[106:107], v[96:97], v[102:103]
	v_fma_f64 v[104:105], v[96:97], v[100:101], -v[104:105]
	v_fmac_f64_e32 v[106:107], v[98:99], v[100:101]
	global_load_dwordx4 v[100:103], v89, s[6:7] offset:336
	ds_read_b128 v[96:99], v93 offset:336
	ds_write_b128 v93, v[104:107] offset:224
	;; [unrolled: 8-line block ×14, first 2 shown]
	s_waitcnt vmcnt(0) lgkmcnt(1)
	v_mul_f64 v[104:105], v[98:99], v[102:103]
	v_mul_f64 v[106:107], v[96:97], v[102:103]
	v_fma_f64 v[104:105], v[96:97], v[100:101], -v[104:105]
	v_fmac_f64_e32 v[106:107], v[98:99], v[100:101]
	ds_write_b128 v93, v[104:107] offset:1680
.LBB0_9:
	s_or_b64 exec, exec, s[4:5]
	s_waitcnt lgkmcnt(0)
	s_barrier
	s_and_saveexec_b64 s[4:5], vcc
	s_cbranch_execz .LBB0_11
; %bb.10:
	ds_read_b128 v[60:63], v94
	ds_read_b128 v[64:67], v93 offset:112
	ds_read_b128 v[68:71], v93 offset:224
	;; [unrolled: 1-line block ×15, first 2 shown]
.LBB0_11:
	s_or_b64 exec, exec, s[4:5]
	s_waitcnt lgkmcnt(0)
	s_barrier
	s_and_saveexec_b64 s[4:5], vcc
	s_cbranch_execz .LBB0_13
; %bb.12:
	v_add_f64 v[98:99], v[62:63], -v[26:27]
	v_add_f64 v[38:39], v[74:75], -v[38:39]
	;; [unrolled: 1-line block ×5, first 2 shown]
	v_add_f64 v[124:125], v[122:123], v[38:39]
	v_fma_f64 v[62:63], v[62:63], 2.0, -v[98:99]
	v_fma_f64 v[38:39], v[74:75], 2.0, -v[38:39]
	v_add_f64 v[42:43], v[70:71], -v[42:43]
	v_add_f64 v[56:57], v[28:29], -v[56:57]
	;; [unrolled: 1-line block ×6, first 2 shown]
	v_fma_f64 v[68:69], v[68:69], 2.0, -v[40:41]
	v_fma_f64 v[38:39], v[84:85], 2.0, -v[52:53]
	v_add_f64 v[96:97], v[42:43], -v[52:53]
	v_add_f64 v[46:47], v[78:79], -v[46:47]
	;; [unrolled: 1-line block ×3, first 2 shown]
	v_add_f64 v[118:119], v[50:51], v[116:117]
	v_add_f64 v[52:53], v[68:69], -v[38:39]
	v_fma_f64 v[38:39], v[82:83], 2.0, -v[50:51]
	v_fma_f64 v[50:51], v[76:77], 2.0, -v[44:45]
	;; [unrolled: 1-line block ×3, first 2 shown]
	v_add_f64 v[106:107], v[46:47], -v[56:57]
	v_add_f64 v[48:49], v[80:81], -v[48:49]
	;; [unrolled: 1-line block ×3, first 2 shown]
	v_fma_f64 v[78:79], v[78:79], 2.0, -v[46:47]
	v_fma_f64 v[28:29], v[30:31], 2.0, -v[58:59]
	v_add_f64 v[54:55], v[86:87], -v[54:55]
	v_add_f64 v[108:109], v[66:67], -v[34:35]
	v_add_f64 v[114:115], v[58:59], v[44:45]
	v_add_f64 v[58:59], v[78:79], -v[28:29]
	v_fma_f64 v[64:65], v[64:65], 2.0, -v[116:117]
	v_fma_f64 v[28:29], v[80:81], 2.0, -v[48:49]
	v_add_f64 v[36:37], v[72:73], -v[36:37]
	s_mov_b32 s6, 0x667f3bcd
	v_add_f64 v[110:111], v[108:109], -v[48:49]
	v_add_f64 v[80:81], v[64:65], -v[28:29]
	v_fma_f64 v[48:49], v[70:71], 2.0, -v[42:43]
	v_fma_f64 v[28:29], v[86:87], 2.0, -v[54:55]
	v_add_f64 v[100:101], v[98:99], -v[36:37]
	s_mov_b32 s7, 0x3fe6a09e
	v_add_f64 v[104:105], v[54:55], v[40:41]
	v_add_f64 v[54:55], v[48:49], -v[28:29]
	v_fma_f64 v[102:103], s[6:7], v[96:97], v[100:101]
	s_mov_b32 s11, 0xbfe6a09e
	s_mov_b32 s10, s6
	v_fma_f64 v[112:113], s[6:7], v[106:107], v[110:111]
	v_fma_f64 v[66:67], v[66:67], 2.0, -v[108:109]
	v_fma_f64 v[60:61], v[60:61], 2.0, -v[122:123]
	;; [unrolled: 1-line block ×5, first 2 shown]
	v_fmac_f64_e32 v[102:103], s[10:11], v[104:105]
	v_fmac_f64_e32 v[112:113], s[10:11], v[114:115]
	v_fma_f64 v[120:121], s[6:7], v[114:115], v[118:119]
	v_add_f64 v[82:83], v[66:67], -v[38:39]
	v_add_f64 v[72:73], v[60:61], -v[28:29]
	;; [unrolled: 1-line block ×3, first 2 shown]
	v_fma_f64 v[134:135], v[64:65], 2.0, -v[80:81]
	v_fma_f64 v[48:49], v[50:51], 2.0, -v[56:57]
	s_mov_b32 s18, 0xcf328d46
	v_fmac_f64_e32 v[120:121], s[6:7], v[106:107]
	v_fma_f64 v[126:127], s[6:7], v[104:105], v[124:125]
	v_add_f64 v[76:77], v[82:83], -v[56:57]
	v_add_f64 v[136:137], v[134:135], -v[48:49]
	v_fma_f64 v[138:139], v[60:61], 2.0, -v[72:73]
	v_fma_f64 v[48:49], v[68:69], 2.0, -v[52:53]
	;; [unrolled: 1-line block ×4, first 2 shown]
	s_mov_b32 s19, 0x3fed906b
	v_fmac_f64_e32 v[126:127], s[6:7], v[96:97]
	v_add_f64 v[128:129], v[58:59], v[80:81]
	s_mov_b32 s21, 0xbfed906b
	s_mov_b32 s20, s18
	v_add_f64 v[140:141], v[138:139], -v[48:49]
	v_fma_f64 v[48:49], v[78:79], 2.0, -v[58:59]
	v_fma_f64 v[58:59], s[14:15], v[60:61], v[56:57]
	v_fma_f64 v[64:65], v[118:119], 2.0, -v[120:121]
	v_fma_f64 v[142:143], v[66:67], 2.0, -v[82:83]
	v_fmac_f64_e32 v[58:59], s[20:21], v[64:65]
	v_fma_f64 v[66:67], v[124:125], 2.0, -v[126:127]
	v_add_f64 v[84:85], v[74:75], -v[52:53]
	v_fma_f64 v[62:63], v[56:57], 2.0, -v[58:59]
	v_fma_f64 v[56:57], s[14:15], v[64:65], v[66:67]
	v_fmac_f64_e32 v[56:57], s[18:19], v[60:61]
	v_fma_f64 v[64:65], v[74:75], 2.0, -v[84:85]
	v_fma_f64 v[68:69], v[82:83], 2.0, -v[76:77]
	v_add_f64 v[86:87], v[72:73], v[54:55]
	v_fma_f64 v[40:41], v[40:41], 2.0, -v[104:105]
	v_fma_f64 v[104:105], v[108:109], 2.0, -v[110:111]
	;; [unrolled: 1-line block ×5, first 2 shown]
	v_fma_f64 v[66:67], s[10:11], v[68:69], v[64:65]
	v_fma_f64 v[74:75], v[80:81], 2.0, -v[128:129]
	v_fma_f64 v[98:99], v[98:99], 2.0, -v[100:101]
	;; [unrolled: 1-line block ×4, first 2 shown]
	v_fma_f64 v[122:123], s[10:11], v[40:41], v[116:117]
	v_fmac_f64_e32 v[66:67], s[10:11], v[74:75]
	v_fma_f64 v[72:73], v[72:73], 2.0, -v[86:87]
	v_fma_f64 v[96:97], s[10:11], v[70:71], v[98:99]
	v_fma_f64 v[106:107], s[10:11], v[46:47], v[104:105]
	v_fma_f64 v[44:45], v[44:45], 2.0, -v[114:115]
	v_fmac_f64_e32 v[122:123], s[6:7], v[70:71]
	v_fma_f64 v[70:71], v[64:65], 2.0, -v[66:67]
	v_fma_f64 v[64:65], s[10:11], v[74:75], v[72:73]
	v_fma_f64 v[36:37], s[6:7], v[128:129], v[86:87]
	v_fmac_f64_e32 v[96:97], s[10:11], v[40:41]
	v_fmac_f64_e32 v[106:107], s[10:11], v[44:45]
	v_fma_f64 v[114:115], s[10:11], v[44:45], v[108:109]
	v_fmac_f64_e32 v[64:65], s[6:7], v[68:69]
	v_fma_f64 v[38:39], s[6:7], v[76:77], v[84:85]
	v_fmac_f64_e32 v[36:37], s[6:7], v[76:77]
	v_fmac_f64_e32 v[114:115], s[6:7], v[46:47]
	v_fma_f64 v[68:69], v[72:73], 2.0, -v[64:65]
	v_fma_f64 v[72:73], v[98:99], 2.0, -v[96:97]
	;; [unrolled: 1-line block ×3, first 2 shown]
	v_fma_f64 v[74:75], s[20:21], v[76:77], v[72:73]
	v_fma_f64 v[80:81], v[108:109], 2.0, -v[114:115]
	v_fmac_f64_e32 v[74:75], s[14:15], v[80:81]
	v_fma_f64 v[82:83], v[116:117], 2.0, -v[122:123]
	s_mov_b32 s16, s14
	v_fma_f64 v[78:79], v[72:73], 2.0, -v[74:75]
	v_fma_f64 v[72:73], s[20:21], v[80:81], v[82:83]
	v_add_f64 v[144:145], v[142:143], -v[48:49]
	v_fmac_f64_e32 v[72:73], s[16:17], v[76:77]
	v_fma_f64 v[76:77], v[82:83], 2.0, -v[72:73]
	v_fma_f64 v[80:81], v[130:131], 2.0, -v[132:133]
	;; [unrolled: 1-line block ×3, first 2 shown]
	v_fmac_f64_e32 v[38:39], s[10:11], v[128:129]
	v_add_f64 v[82:83], v[80:81], -v[82:83]
	v_fma_f64 v[30:31], v[84:85], 2.0, -v[38:39]
	v_fma_f64 v[28:29], v[86:87], 2.0, -v[36:37]
	;; [unrolled: 1-line block ×5, first 2 shown]
	v_fma_f64 v[26:27], s[18:19], v[112:113], v[102:103]
	v_fma_f64 v[24:25], s[18:19], v[120:121], v[126:127]
	v_fma_f64 v[42:43], s[16:17], v[106:107], v[96:97]
	v_fma_f64 v[40:41], s[16:17], v[114:115], v[122:123]
	v_add_f64 v[80:81], v[84:85], -v[80:81]
	v_fmac_f64_e32 v[26:27], s[14:15], v[120:121]
	v_fmac_f64_e32 v[24:25], s[16:17], v[112:113]
	;; [unrolled: 1-line block ×4, first 2 shown]
	v_add_f64 v[50:51], v[132:133], -v[136:137]
	v_add_f64 v[48:49], v[140:141], v[144:145]
	v_fma_f64 v[84:85], v[84:85], 2.0, -v[80:81]
	v_add_lshl_u32 v92, v92, v89, 4
	v_fma_f64 v[34:35], v[102:103], 2.0, -v[26:27]
	v_fma_f64 v[32:33], v[126:127], 2.0, -v[24:25]
	;; [unrolled: 1-line block ×6, first 2 shown]
	ds_write_b128 v92, v[84:87]
	ds_write_b128 v92, v[76:79] offset:16
	ds_write_b128 v92, v[68:71] offset:32
	;; [unrolled: 1-line block ×15, first 2 shown]
.LBB0_13:
	s_or_b64 exec, exec, s[4:5]
	s_waitcnt lgkmcnt(0)
	s_barrier
	ds_read_b128 v[24:27], v94
	ds_read_b128 v[28:31], v94 offset:256
	ds_read_b128 v[32:35], v94 offset:512
	;; [unrolled: 1-line block ×6, first 2 shown]
	s_waitcnt lgkmcnt(5)
	v_mul_f64 v[52:53], v[14:15], v[30:31]
	v_mul_f64 v[14:15], v[14:15], v[28:29]
	v_fmac_f64_e32 v[52:53], v[12:13], v[28:29]
	v_fma_f64 v[12:13], v[12:13], v[30:31], -v[14:15]
	s_waitcnt lgkmcnt(4)
	v_mul_f64 v[14:15], v[10:11], v[34:35]
	v_mul_f64 v[10:11], v[10:11], v[32:33]
	v_fmac_f64_e32 v[14:15], v[8:9], v[32:33]
	v_fma_f64 v[8:9], v[8:9], v[34:35], -v[10:11]
	;; [unrolled: 5-line block ×6, first 2 shown]
	v_add_f64 v[18:19], v[52:53], v[22:23]
	v_add_f64 v[28:29], v[12:13], v[16:17]
	v_add_f64 v[12:13], v[12:13], -v[16:17]
	v_add_f64 v[16:17], v[14:15], v[2:3]
	v_add_f64 v[30:31], v[8:9], v[20:21]
	v_add_f64 v[2:3], v[14:15], -v[2:3]
	v_add_f64 v[8:9], v[8:9], -v[20:21]
	v_add_f64 v[14:15], v[10:11], v[6:7]
	v_add_f64 v[20:21], v[4:5], v[0:1]
	v_add_f64 v[0:1], v[0:1], -v[4:5]
	v_add_f64 v[4:5], v[16:17], v[18:19]
	v_add_f64 v[6:7], v[6:7], -v[10:11]
	v_add_f64 v[10:11], v[30:31], v[28:29]
	v_add_f64 v[4:5], v[14:15], v[4:5]
	s_mov_b32 s4, 0x37e14327
	s_mov_b32 s6, 0xe976ee23
	v_add_f64 v[22:23], v[52:53], -v[22:23]
	v_add_f64 v[32:33], v[16:17], -v[18:19]
	;; [unrolled: 1-line block ×5, first 2 shown]
	v_add_f64 v[38:39], v[0:1], v[8:9]
	v_add_f64 v[40:41], v[6:7], -v[2:3]
	v_add_f64 v[42:43], v[0:1], -v[8:9]
	;; [unrolled: 1-line block ×3, first 2 shown]
	v_add_f64 v[10:11], v[20:21], v[10:11]
	v_add_f64 v[0:1], v[24:25], v[4:5]
	s_mov_b32 s5, 0x3fe948f6
	s_mov_b32 s7, 0x3fe11646
	s_mov_b32 s10, 0xaaaaaaaa
	v_add_f64 v[30:31], v[20:21], -v[30:31]
	v_add_f64 v[36:37], v[6:7], v[2:3]
	v_add_f64 v[46:47], v[2:3], -v[22:23]
	v_add_f64 v[2:3], v[26:27], v[10:11]
	v_mul_f64 v[18:19], v[18:19], s[4:5]
	v_mul_f64 v[20:21], v[28:29], s[4:5]
	s_mov_b32 s4, 0x36b3c0b5
	v_mul_f64 v[26:27], v[40:41], s[6:7]
	s_mov_b32 s11, 0xbff2aaaa
	v_mov_b64_e32 v[40:41], v[0:1]
	v_add_f64 v[16:17], v[14:15], -v[16:17]
	s_mov_b32 s5, 0x3fac98ee
	v_fmac_f64_e32 v[40:41], s[10:11], v[4:5]
	v_mov_b64_e32 v[4:5], v[2:3]
	v_add_f64 v[6:7], v[22:23], -v[6:7]
	v_add_f64 v[14:15], v[36:37], v[22:23]
	v_mul_f64 v[22:23], v[16:17], s[4:5]
	v_mul_f64 v[24:25], v[30:31], s[4:5]
	v_fmac_f64_e32 v[4:5], s[10:11], v[10:11]
	s_mov_b32 s11, 0x3fe77f67
	s_mov_b32 s10, 0x5476071b
	v_mul_f64 v[28:29], v[42:43], s[6:7]
	s_mov_b32 s6, 0x429ad128
	v_fma_f64 v[10:11], s[4:5], v[16:17], v[18:19]
	v_fma_f64 v[16:17], v[32:33], s[10:11], -v[22:23]
	v_fma_f64 v[22:23], v[34:35], s[10:11], -v[24:25]
	s_mov_b32 s11, 0xbfe77f67
	v_add_f64 v[8:9], v[8:9], -v[12:13]
	s_mov_b32 s7, 0xbfebfeb5
	v_fma_f64 v[24:25], v[34:35], s[10:11], -v[20:21]
	v_fmac_f64_e32 v[20:21], s[4:5], v[30:31]
	s_mov_b32 s5, 0xbfd5d0dc
	s_mov_b32 s4, 0xb247c609
	v_add_f64 v[12:13], v[38:39], v[12:13]
	v_mul_f64 v[36:37], v[46:47], s[6:7]
	v_mul_f64 v[38:39], v[8:9], s[6:7]
	v_fma_f64 v[18:19], v[32:33], s[10:11], -v[18:19]
	v_fma_f64 v[30:31], s[4:5], v[6:7], v[26:27]
	v_fma_f64 v[32:33], v[8:9], s[6:7], -v[28:29]
	v_fmac_f64_e32 v[28:29], s[4:5], v[44:45]
	s_mov_b32 s5, 0x3fd5d0dc
	v_fma_f64 v[34:35], v[6:7], s[4:5], -v[36:37]
	v_fma_f64 v[36:37], v[44:45], s[4:5], -v[38:39]
	s_mov_b32 s4, 0x37c3f68c
	v_fma_f64 v[26:27], v[46:47], s[6:7], -v[26:27]
	s_mov_b32 s5, 0xbfdc38aa
	v_add_f64 v[38:39], v[10:11], v[40:41]
	v_add_f64 v[42:43], v[20:21], v[4:5]
	;; [unrolled: 1-line block ×6, first 2 shown]
	v_fmac_f64_e32 v[30:31], s[4:5], v[14:15]
	v_fmac_f64_e32 v[28:29], s[4:5], v[12:13]
	;; [unrolled: 1-line block ×6, first 2 shown]
	v_add_f64 v[4:5], v[28:29], v[38:39]
	v_add_f64 v[6:7], v[42:43], -v[30:31]
	v_add_f64 v[8:9], v[36:37], v[22:23]
	v_add_f64 v[10:11], v[24:25], -v[34:35]
	v_add_f64 v[12:13], v[16:17], -v[32:33]
	v_add_f64 v[14:15], v[26:27], v[20:21]
	v_add_f64 v[16:17], v[32:33], v[16:17]
	v_add_f64 v[18:19], v[20:21], -v[26:27]
	v_add_f64 v[20:21], v[22:23], -v[36:37]
	v_add_f64 v[22:23], v[34:35], v[24:25]
	v_add_f64 v[24:25], v[38:39], -v[28:29]
	v_add_f64 v[26:27], v[30:31], v[42:43]
	ds_write_b128 v94, v[0:3]
	ds_write_b128 v93, v[4:7] offset:256
	ds_write_b128 v93, v[8:11] offset:512
	;; [unrolled: 1-line block ×6, first 2 shown]
	s_waitcnt lgkmcnt(0)
	s_barrier
	s_and_b64 exec, exec, vcc
	s_cbranch_execz .LBB0_15
; %bb.14:
	global_load_dwordx4 v[0:3], v89, s[8:9]
	global_load_dwordx4 v[4:7], v89, s[8:9] offset:112
	global_load_dwordx4 v[8:11], v89, s[8:9] offset:224
	;; [unrolled: 1-line block ×5, first 2 shown]
	ds_read_b128 v[28:31], v94
	ds_read_b128 v[32:35], v93 offset:112
	global_load_dwordx4 v[20:23], v89, s[8:9] offset:672
	ds_read_b128 v[36:39], v93 offset:224
	ds_read_b128 v[40:43], v93 offset:336
	;; [unrolled: 1-line block ×4, first 2 shown]
	global_load_dwordx4 v[52:55], v89, s[8:9] offset:784
	global_load_dwordx4 v[56:59], v89, s[8:9] offset:896
	;; [unrolled: 1-line block ×5, first 2 shown]
	v_mad_u64_u32 v[74:75], s[4:5], s2, v88, 0
	v_mad_u64_u32 v[76:77], s[6:7], s0, v91, 0
	v_mov_b32_e32 v78, v75
	v_mov_b32_e32 v80, v77
	v_mad_u64_u32 v[78:79], s[6:7], s3, v88, v[78:79]
	v_mov_b32_e32 v72, s12
	v_mov_b32_e32 v73, s13
	;; [unrolled: 3-line block ×3, first 2 shown]
	v_lshl_add_u64 v[72:73], v[74:75], 4, v[72:73]
	v_mov_b32_e32 v92, 0x70
	v_lshl_add_u64 v[74:75], v[76:77], 4, v[72:73]
	s_mul_i32 s2, s1, 0x70
	v_mad_u64_u32 v[76:77], s[6:7], s0, v92, v[74:75]
	v_add_u32_e32 v77, s2, v77
	v_mad_u64_u32 v[78:79], s[6:7], s0, v92, v[76:77]
	v_add_u32_e32 v79, s2, v79
	s_mov_b32 s4, 0x92492492
	v_mad_u64_u32 v[80:81], s[6:7], s0, v92, v[78:79]
	s_mov_b32 s5, 0x3f824924
	v_add_u32_e32 v81, s2, v81
	v_mad_u64_u32 v[82:83], s[6:7], s0, v92, v[80:81]
	v_add_u32_e32 v83, s2, v83
	s_waitcnt vmcnt(11) lgkmcnt(5)
	v_mul_f64 v[84:85], v[30:31], v[2:3]
	v_mul_f64 v[2:3], v[28:29], v[2:3]
	s_waitcnt vmcnt(10) lgkmcnt(4)
	v_mul_f64 v[86:87], v[34:35], v[6:7]
	v_mul_f64 v[6:7], v[32:33], v[6:7]
	;; [unrolled: 3-line block ×5, first 2 shown]
	v_fmac_f64_e32 v[84:85], v[28:29], v[0:1]
	v_fma_f64 v[2:3], v[0:1], v[30:31], -v[2:3]
	v_fmac_f64_e32 v[86:87], v[32:33], v[4:5]
	v_fma_f64 v[6:7], v[4:5], v[34:35], -v[6:7]
	;; [unrolled: 2-line block ×5, first 2 shown]
	v_mul_f64 v[0:1], v[84:85], s[4:5]
	v_mul_f64 v[2:3], v[2:3], s[4:5]
	;; [unrolled: 1-line block ×10, first 2 shown]
	global_store_dwordx4 v[74:75], v[0:3], off
	global_store_dwordx4 v[76:77], v[4:7], off
	;; [unrolled: 1-line block ×5, first 2 shown]
	global_load_dwordx4 v[4:7], v89, s[8:9] offset:1344
	s_waitcnt vmcnt(12) lgkmcnt(0)
	v_mul_f64 v[0:1], v[50:51], v[26:27]
	v_mul_f64 v[2:3], v[48:49], v[26:27]
	ds_read_b128 v[8:11], v93 offset:672
	v_fmac_f64_e32 v[0:1], v[48:49], v[24:25]
	v_fma_f64 v[2:3], v[24:25], v[50:51], -v[2:3]
	v_mad_u64_u32 v[16:17], s[6:7], s0, v92, v[82:83]
	v_mul_f64 v[0:1], v[0:1], s[4:5]
	v_mul_f64 v[2:3], v[2:3], s[4:5]
	v_add_u32_e32 v17, s2, v17
	global_store_dwordx4 v[16:17], v[0:3], off
	ds_read_b128 v[0:3], v93 offset:784
	s_waitcnt vmcnt(12) lgkmcnt(1)
	v_mul_f64 v[12:13], v[10:11], v[22:23]
	v_fmac_f64_e32 v[12:13], v[8:9], v[20:21]
	v_mul_f64 v[8:9], v[8:9], v[22:23]
	v_fma_f64 v[8:9], v[20:21], v[10:11], -v[8:9]
	v_mul_f64 v[14:15], v[8:9], s[4:5]
	s_waitcnt vmcnt(11) lgkmcnt(0)
	v_mul_f64 v[8:9], v[2:3], v[54:55]
	v_fmac_f64_e32 v[8:9], v[0:1], v[52:53]
	v_mul_f64 v[0:1], v[0:1], v[54:55]
	v_fma_f64 v[0:1], v[52:53], v[2:3], -v[0:1]
	v_mul_f64 v[10:11], v[0:1], s[4:5]
	ds_read_b128 v[0:3], v93 offset:896
	v_mad_u64_u32 v[16:17], s[6:7], s0, v92, v[16:17]
	v_mul_f64 v[12:13], v[12:13], s[4:5]
	v_add_u32_e32 v17, s2, v17
	global_store_dwordx4 v[16:17], v[12:15], off
	v_mad_u64_u32 v[16:17], s[6:7], s0, v92, v[16:17]
	v_mul_f64 v[8:9], v[8:9], s[4:5]
	v_add_u32_e32 v17, s2, v17
	global_store_dwordx4 v[16:17], v[8:11], off
	ds_read_b128 v[8:11], v93 offset:1008
	s_waitcnt vmcnt(12) lgkmcnt(1)
	v_mul_f64 v[12:13], v[2:3], v[58:59]
	v_fmac_f64_e32 v[12:13], v[0:1], v[56:57]
	v_mul_f64 v[0:1], v[0:1], v[58:59]
	v_fma_f64 v[0:1], v[56:57], v[2:3], -v[0:1]
	v_mul_f64 v[14:15], v[0:1], s[4:5]
	v_mad_u64_u32 v[0:1], s[6:7], s0, v90, 0
	v_mov_b32_e32 v2, v1
	v_mad_u64_u32 v[2:3], s[6:7], s1, v90, v[2:3]
	v_mov_b32_e32 v1, v2
	v_mul_f64 v[12:13], v[12:13], s[4:5]
	v_lshl_add_u64 v[0:1], v[0:1], 4, v[72:73]
	global_store_dwordx4 v[0:1], v[12:15], off
	s_waitcnt vmcnt(12) lgkmcnt(0)
	v_mul_f64 v[0:1], v[10:11], v[62:63]
	v_fmac_f64_e32 v[0:1], v[8:9], v[60:61]
	v_mul_f64 v[2:3], v[8:9], v[62:63]
	v_mov_b32_e32 v8, 0xe0
	v_fma_f64 v[2:3], v[60:61], v[10:11], -v[2:3]
	v_mad_u64_u32 v[16:17], s[6:7], s0, v8, v[16:17]
	ds_read_b128 v[8:11], v93 offset:1120
	s_mulk_i32 s1, 0xe0
	v_mul_f64 v[0:1], v[0:1], s[4:5]
	v_mul_f64 v[2:3], v[2:3], s[4:5]
	v_add_u32_e32 v17, s1, v17
	global_store_dwordx4 v[16:17], v[0:3], off
	ds_read_b128 v[0:3], v93 offset:1232
	s_waitcnt vmcnt(12) lgkmcnt(1)
	v_mul_f64 v[12:13], v[10:11], v[66:67]
	v_fmac_f64_e32 v[12:13], v[8:9], v[64:65]
	v_mul_f64 v[8:9], v[8:9], v[66:67]
	v_fma_f64 v[8:9], v[64:65], v[10:11], -v[8:9]
	v_mul_f64 v[14:15], v[8:9], s[4:5]
	s_waitcnt vmcnt(11) lgkmcnt(0)
	v_mul_f64 v[8:9], v[2:3], v[70:71]
	v_fmac_f64_e32 v[8:9], v[0:1], v[68:69]
	v_mul_f64 v[0:1], v[0:1], v[70:71]
	v_fma_f64 v[0:1], v[68:69], v[2:3], -v[0:1]
	v_mul_f64 v[10:11], v[0:1], s[4:5]
	ds_read_b128 v[0:3], v93 offset:1344
	v_mad_u64_u32 v[16:17], s[6:7], s0, v92, v[16:17]
	v_mul_f64 v[12:13], v[12:13], s[4:5]
	v_add_u32_e32 v17, s2, v17
	global_store_dwordx4 v[16:17], v[12:15], off
	v_mad_u64_u32 v[16:17], s[6:7], s0, v92, v[16:17]
	v_mul_f64 v[8:9], v[8:9], s[4:5]
	v_add_u32_e32 v17, s2, v17
	global_store_dwordx4 v[16:17], v[8:11], off
	ds_read_b128 v[8:11], v93 offset:1456
	s_waitcnt vmcnt(7) lgkmcnt(1)
	v_mul_f64 v[12:13], v[2:3], v[6:7]
	v_fmac_f64_e32 v[12:13], v[0:1], v[4:5]
	v_mul_f64 v[0:1], v[0:1], v[6:7]
	v_fma_f64 v[0:1], v[4:5], v[2:3], -v[0:1]
	v_mad_u64_u32 v[16:17], s[6:7], s0, v92, v[16:17]
	v_mul_f64 v[12:13], v[12:13], s[4:5]
	v_mul_f64 v[14:15], v[0:1], s[4:5]
	v_add_u32_e32 v17, s2, v17
	global_store_dwordx4 v[16:17], v[12:15], off
	global_load_dwordx4 v[0:3], v89, s[8:9] offset:1456
	s_waitcnt vmcnt(0) lgkmcnt(0)
	v_mul_f64 v[4:5], v[10:11], v[2:3]
	v_mul_f64 v[2:3], v[8:9], v[2:3]
	v_fmac_f64_e32 v[4:5], v[8:9], v[0:1]
	v_fma_f64 v[0:1], v[0:1], v[10:11], -v[2:3]
	v_mad_u64_u32 v[12:13], s[6:7], s0, v92, v[16:17]
	v_mul_f64 v[4:5], v[4:5], s[4:5]
	v_mul_f64 v[6:7], v[0:1], s[4:5]
	v_add_u32_e32 v13, s2, v13
	global_store_dwordx4 v[12:13], v[4:7], off
	global_load_dwordx4 v[0:3], v89, s[8:9] offset:1568
	ds_read_b128 v[4:7], v93 offset:1568
	ds_read_b128 v[8:11], v93 offset:1680
	v_mad_u64_u32 v[12:13], s[6:7], s0, v92, v[12:13]
	v_add_u32_e32 v13, s2, v13
	s_waitcnt vmcnt(0) lgkmcnt(1)
	v_mul_f64 v[14:15], v[6:7], v[2:3]
	v_mul_f64 v[2:3], v[4:5], v[2:3]
	v_fmac_f64_e32 v[14:15], v[4:5], v[0:1]
	v_fma_f64 v[2:3], v[0:1], v[6:7], -v[2:3]
	v_mul_f64 v[0:1], v[14:15], s[4:5]
	v_mul_f64 v[2:3], v[2:3], s[4:5]
	global_store_dwordx4 v[12:13], v[0:3], off
	global_load_dwordx4 v[0:3], v89, s[8:9] offset:1680
	v_mad_u64_u32 v[4:5], s[0:1], s0, v92, v[12:13]
	v_add_u32_e32 v5, s2, v5
	s_waitcnt vmcnt(0) lgkmcnt(0)
	v_mul_f64 v[6:7], v[10:11], v[2:3]
	v_mul_f64 v[2:3], v[8:9], v[2:3]
	v_fmac_f64_e32 v[6:7], v[8:9], v[0:1]
	v_fma_f64 v[2:3], v[0:1], v[10:11], -v[2:3]
	v_mul_f64 v[0:1], v[6:7], s[4:5]
	v_mul_f64 v[2:3], v[2:3], s[4:5]
	global_store_dwordx4 v[4:5], v[0:3], off
.LBB0_15:
	s_endpgm
	.section	.rodata,"a",@progbits
	.p2align	6, 0x0
	.amdhsa_kernel bluestein_single_fwd_len112_dim1_dp_op_CI_CI
		.amdhsa_group_segment_fixed_size 28672
		.amdhsa_private_segment_fixed_size 0
		.amdhsa_kernarg_size 104
		.amdhsa_user_sgpr_count 2
		.amdhsa_user_sgpr_dispatch_ptr 0
		.amdhsa_user_sgpr_queue_ptr 0
		.amdhsa_user_sgpr_kernarg_segment_ptr 1
		.amdhsa_user_sgpr_dispatch_id 0
		.amdhsa_user_sgpr_kernarg_preload_length 0
		.amdhsa_user_sgpr_kernarg_preload_offset 0
		.amdhsa_user_sgpr_private_segment_size 0
		.amdhsa_uses_dynamic_stack 0
		.amdhsa_enable_private_segment 0
		.amdhsa_system_sgpr_workgroup_id_x 1
		.amdhsa_system_sgpr_workgroup_id_y 0
		.amdhsa_system_sgpr_workgroup_id_z 0
		.amdhsa_system_sgpr_workgroup_info 0
		.amdhsa_system_vgpr_workitem_id 0
		.amdhsa_next_free_vgpr 146
		.amdhsa_next_free_sgpr 22
		.amdhsa_accum_offset 148
		.amdhsa_reserve_vcc 1
		.amdhsa_float_round_mode_32 0
		.amdhsa_float_round_mode_16_64 0
		.amdhsa_float_denorm_mode_32 3
		.amdhsa_float_denorm_mode_16_64 3
		.amdhsa_dx10_clamp 1
		.amdhsa_ieee_mode 1
		.amdhsa_fp16_overflow 0
		.amdhsa_tg_split 0
		.amdhsa_exception_fp_ieee_invalid_op 0
		.amdhsa_exception_fp_denorm_src 0
		.amdhsa_exception_fp_ieee_div_zero 0
		.amdhsa_exception_fp_ieee_overflow 0
		.amdhsa_exception_fp_ieee_underflow 0
		.amdhsa_exception_fp_ieee_inexact 0
		.amdhsa_exception_int_div_zero 0
	.end_amdhsa_kernel
	.text
.Lfunc_end0:
	.size	bluestein_single_fwd_len112_dim1_dp_op_CI_CI, .Lfunc_end0-bluestein_single_fwd_len112_dim1_dp_op_CI_CI
                                        ; -- End function
	.section	.AMDGPU.csdata,"",@progbits
; Kernel info:
; codeLenInByte = 8968
; NumSgprs: 28
; NumVgprs: 146
; NumAgprs: 0
; TotalNumVgprs: 146
; ScratchSize: 0
; MemoryBound: 0
; FloatMode: 240
; IeeeMode: 1
; LDSByteSize: 28672 bytes/workgroup (compile time only)
; SGPRBlocks: 3
; VGPRBlocks: 18
; NumSGPRsForWavesPerEU: 28
; NumVGPRsForWavesPerEU: 146
; AccumOffset: 148
; Occupancy: 3
; WaveLimiterHint : 1
; COMPUTE_PGM_RSRC2:SCRATCH_EN: 0
; COMPUTE_PGM_RSRC2:USER_SGPR: 2
; COMPUTE_PGM_RSRC2:TRAP_HANDLER: 0
; COMPUTE_PGM_RSRC2:TGID_X_EN: 1
; COMPUTE_PGM_RSRC2:TGID_Y_EN: 0
; COMPUTE_PGM_RSRC2:TGID_Z_EN: 0
; COMPUTE_PGM_RSRC2:TIDIG_COMP_CNT: 0
; COMPUTE_PGM_RSRC3_GFX90A:ACCUM_OFFSET: 36
; COMPUTE_PGM_RSRC3_GFX90A:TG_SPLIT: 0
	.text
	.p2alignl 6, 3212836864
	.fill 256, 4, 3212836864
	.type	__hip_cuid_dbd60dfb5baa05c3,@object ; @__hip_cuid_dbd60dfb5baa05c3
	.section	.bss,"aw",@nobits
	.globl	__hip_cuid_dbd60dfb5baa05c3
__hip_cuid_dbd60dfb5baa05c3:
	.byte	0                               ; 0x0
	.size	__hip_cuid_dbd60dfb5baa05c3, 1

	.ident	"AMD clang version 19.0.0git (https://github.com/RadeonOpenCompute/llvm-project roc-6.4.0 25133 c7fe45cf4b819c5991fe208aaa96edf142730f1d)"
	.section	".note.GNU-stack","",@progbits
	.addrsig
	.addrsig_sym __hip_cuid_dbd60dfb5baa05c3
	.amdgpu_metadata
---
amdhsa.kernels:
  - .agpr_count:     0
    .args:
      - .actual_access:  read_only
        .address_space:  global
        .offset:         0
        .size:           8
        .value_kind:     global_buffer
      - .actual_access:  read_only
        .address_space:  global
        .offset:         8
        .size:           8
        .value_kind:     global_buffer
      - .actual_access:  read_only
        .address_space:  global
        .offset:         16
        .size:           8
        .value_kind:     global_buffer
      - .actual_access:  read_only
        .address_space:  global
        .offset:         24
        .size:           8
        .value_kind:     global_buffer
      - .actual_access:  read_only
        .address_space:  global
        .offset:         32
        .size:           8
        .value_kind:     global_buffer
      - .offset:         40
        .size:           8
        .value_kind:     by_value
      - .address_space:  global
        .offset:         48
        .size:           8
        .value_kind:     global_buffer
      - .address_space:  global
        .offset:         56
        .size:           8
        .value_kind:     global_buffer
      - .address_space:  global
        .offset:         64
        .size:           8
        .value_kind:     global_buffer
      - .address_space:  global
        .offset:         72
        .size:           8
        .value_kind:     global_buffer
      - .offset:         80
        .size:           4
        .value_kind:     by_value
      - .address_space:  global
        .offset:         88
        .size:           8
        .value_kind:     global_buffer
      - .address_space:  global
        .offset:         96
        .size:           8
        .value_kind:     global_buffer
    .group_segment_fixed_size: 28672
    .kernarg_segment_align: 8
    .kernarg_segment_size: 104
    .language:       OpenCL C
    .language_version:
      - 2
      - 0
    .max_flat_workgroup_size: 256
    .name:           bluestein_single_fwd_len112_dim1_dp_op_CI_CI
    .private_segment_fixed_size: 0
    .sgpr_count:     28
    .sgpr_spill_count: 0
    .symbol:         bluestein_single_fwd_len112_dim1_dp_op_CI_CI.kd
    .uniform_work_group_size: 1
    .uses_dynamic_stack: false
    .vgpr_count:     146
    .vgpr_spill_count: 0
    .wavefront_size: 64
amdhsa.target:   amdgcn-amd-amdhsa--gfx950
amdhsa.version:
  - 1
  - 2
...

	.end_amdgpu_metadata
